;; amdgpu-corpus repo=ROCm/rocFFT kind=compiled arch=gfx950 opt=O3
	.text
	.amdgcn_target "amdgcn-amd-amdhsa--gfx950"
	.amdhsa_code_object_version 6
	.protected	fft_rtc_fwd_len1920_factors_10_6_16_2_wgs_240_tpt_120_halfLds_dp_ip_CI_unitstride_sbrr_C2R_dirReg ; -- Begin function fft_rtc_fwd_len1920_factors_10_6_16_2_wgs_240_tpt_120_halfLds_dp_ip_CI_unitstride_sbrr_C2R_dirReg
	.globl	fft_rtc_fwd_len1920_factors_10_6_16_2_wgs_240_tpt_120_halfLds_dp_ip_CI_unitstride_sbrr_C2R_dirReg
	.p2align	8
	.type	fft_rtc_fwd_len1920_factors_10_6_16_2_wgs_240_tpt_120_halfLds_dp_ip_CI_unitstride_sbrr_C2R_dirReg,@function
fft_rtc_fwd_len1920_factors_10_6_16_2_wgs_240_tpt_120_halfLds_dp_ip_CI_unitstride_sbrr_C2R_dirReg: ; @fft_rtc_fwd_len1920_factors_10_6_16_2_wgs_240_tpt_120_halfLds_dp_ip_CI_unitstride_sbrr_C2R_dirReg
; %bb.0:
	s_load_dwordx2 s[8:9], s[0:1], 0x50
	s_load_dwordx4 s[4:7], s[0:1], 0x0
	s_load_dwordx2 s[10:11], s[0:1], 0x18
	v_mul_u32_u24_e32 v1, 0x223, v0
	v_lshrrev_b32_e32 v1, 16, v1
	v_lshl_add_u32 v6, s2, 1, v1
	v_mov_b32_e32 v4, 0
	s_waitcnt lgkmcnt(0)
	v_cmp_lt_u64_e64 s[2:3], s[6:7], 2
	v_mov_b32_e32 v7, v4
	s_and_b64 vcc, exec, s[2:3]
	v_mov_b64_e32 v[2:3], 0
	s_cbranch_vccnz .LBB0_8
; %bb.1:
	s_load_dwordx2 s[2:3], s[0:1], 0x10
	s_add_u32 s12, s10, 8
	s_addc_u32 s13, s11, 0
	s_mov_b64 s[14:15], 1
	v_mov_b64_e32 v[2:3], 0
	s_waitcnt lgkmcnt(0)
	s_add_u32 s16, s2, 8
	s_addc_u32 s17, s3, 0
.LBB0_2:                                ; =>This Inner Loop Header: Depth=1
	s_load_dwordx2 s[18:19], s[16:17], 0x0
                                        ; implicit-def: $vgpr8_vgpr9
	s_waitcnt lgkmcnt(0)
	v_or_b32_e32 v5, s19, v7
	v_cmp_ne_u64_e32 vcc, 0, v[4:5]
	s_and_saveexec_b64 s[2:3], vcc
	s_xor_b64 s[20:21], exec, s[2:3]
	s_cbranch_execz .LBB0_4
; %bb.3:                                ;   in Loop: Header=BB0_2 Depth=1
	v_cvt_f32_u32_e32 v5, s18
	v_cvt_f32_u32_e32 v8, s19
	s_sub_u32 s2, 0, s18
	s_subb_u32 s3, 0, s19
	v_fmac_f32_e32 v5, 0x4f800000, v8
	v_rcp_f32_e32 v5, v5
	s_nop 0
	v_mul_f32_e32 v5, 0x5f7ffffc, v5
	v_mul_f32_e32 v8, 0x2f800000, v5
	v_trunc_f32_e32 v8, v8
	v_fmac_f32_e32 v5, 0xcf800000, v8
	v_cvt_u32_f32_e32 v12, v8
	v_cvt_u32_f32_e32 v5, v5
	v_mul_lo_u32 v8, s2, v12
	v_mul_hi_u32 v10, s2, v5
	v_mul_lo_u32 v9, s3, v5
	v_add_u32_e32 v10, v10, v8
	v_mul_lo_u32 v13, s2, v5
	v_add_u32_e32 v14, v10, v9
	v_mul_hi_u32 v8, v5, v13
	v_mul_hi_u32 v11, v5, v14
	v_mul_lo_u32 v10, v5, v14
	v_mov_b32_e32 v9, v4
	v_lshl_add_u64 v[8:9], v[8:9], 0, v[10:11]
	v_mul_hi_u32 v11, v12, v13
	v_mul_lo_u32 v13, v12, v13
	v_add_co_u32_e32 v8, vcc, v8, v13
	v_mul_hi_u32 v10, v12, v14
	s_nop 0
	v_addc_co_u32_e32 v8, vcc, v9, v11, vcc
	v_mov_b32_e32 v9, v4
	s_nop 0
	v_addc_co_u32_e32 v11, vcc, 0, v10, vcc
	v_mul_lo_u32 v10, v12, v14
	v_lshl_add_u64 v[8:9], v[8:9], 0, v[10:11]
	v_add_co_u32_e32 v5, vcc, v5, v8
	v_mul_lo_u32 v10, s2, v5
	s_nop 0
	v_addc_co_u32_e32 v12, vcc, v12, v9, vcc
	v_mul_lo_u32 v8, s2, v12
	v_mul_hi_u32 v9, s2, v5
	v_add_u32_e32 v8, v9, v8
	v_mul_lo_u32 v9, s3, v5
	v_add_u32_e32 v13, v8, v9
	v_mul_hi_u32 v15, v12, v10
	v_mul_lo_u32 v16, v12, v10
	v_mul_hi_u32 v9, v5, v13
	v_mul_lo_u32 v8, v5, v13
	v_mul_hi_u32 v10, v5, v10
	v_mov_b32_e32 v11, v4
	v_lshl_add_u64 v[8:9], v[10:11], 0, v[8:9]
	v_add_co_u32_e32 v8, vcc, v8, v16
	v_mul_hi_u32 v14, v12, v13
	s_nop 0
	v_addc_co_u32_e32 v8, vcc, v9, v15, vcc
	v_mul_lo_u32 v10, v12, v13
	s_nop 0
	v_addc_co_u32_e32 v11, vcc, 0, v14, vcc
	v_mov_b32_e32 v9, v4
	v_lshl_add_u64 v[8:9], v[8:9], 0, v[10:11]
	v_add_co_u32_e32 v5, vcc, v5, v8
	v_mul_hi_u32 v10, v6, v5
	s_nop 0
	v_addc_co_u32_e32 v12, vcc, v12, v9, vcc
	v_mad_u64_u32 v[8:9], s[2:3], v6, v12, 0
	v_mov_b32_e32 v11, v4
	v_lshl_add_u64 v[8:9], v[10:11], 0, v[8:9]
	v_mad_u64_u32 v[10:11], s[2:3], v7, v12, 0
	v_mad_u64_u32 v[12:13], s[2:3], v7, v5, 0
	v_add_co_u32_e32 v5, vcc, v8, v12
	s_nop 1
	v_addc_co_u32_e32 v8, vcc, v9, v13, vcc
	v_mov_b32_e32 v9, v4
	s_nop 0
	v_addc_co_u32_e32 v11, vcc, 0, v11, vcc
	v_lshl_add_u64 v[8:9], v[8:9], 0, v[10:11]
	v_mul_lo_u32 v5, s19, v8
	v_mul_lo_u32 v12, s18, v9
	v_mad_u64_u32 v[10:11], s[2:3], s18, v8, 0
	v_add3_u32 v5, v11, v12, v5
	v_sub_u32_e32 v11, v7, v5
	v_mov_b32_e32 v12, s19
	v_sub_co_u32_e32 v14, vcc, v6, v10
	s_nop 1
	v_subb_co_u32_e64 v10, s[2:3], v11, v12, vcc
	v_subrev_co_u32_e64 v11, s[2:3], s18, v14
	v_subb_co_u32_e32 v5, vcc, v7, v5, vcc
	s_nop 0
	v_subbrev_co_u32_e64 v10, s[2:3], 0, v10, s[2:3]
	v_cmp_le_u32_e64 s[2:3], s19, v10
	v_cmp_le_u32_e32 vcc, s19, v5
	s_nop 0
	v_cndmask_b32_e64 v12, 0, -1, s[2:3]
	v_cmp_le_u32_e64 s[2:3], s18, v11
	s_nop 1
	v_cndmask_b32_e64 v11, 0, -1, s[2:3]
	v_cmp_eq_u32_e64 s[2:3], s19, v10
	s_nop 1
	v_cndmask_b32_e64 v15, v12, v11, s[2:3]
	v_lshl_add_u64 v[10:11], v[8:9], 0, 2
	v_lshl_add_u64 v[12:13], v[8:9], 0, 1
	v_cmp_ne_u32_e64 s[2:3], 0, v15
	s_nop 1
	v_cndmask_b32_e64 v11, v13, v11, s[2:3]
	v_cndmask_b32_e64 v13, 0, -1, vcc
	v_cmp_le_u32_e32 vcc, s18, v14
	s_nop 1
	v_cndmask_b32_e64 v14, 0, -1, vcc
	v_cmp_eq_u32_e32 vcc, s19, v5
	s_nop 1
	v_cndmask_b32_e32 v5, v13, v14, vcc
	v_cmp_ne_u32_e32 vcc, 0, v5
	v_cndmask_b32_e64 v5, v12, v10, s[2:3]
	s_nop 0
	v_cndmask_b32_e32 v9, v9, v11, vcc
	v_cndmask_b32_e32 v8, v8, v5, vcc
.LBB0_4:                                ;   in Loop: Header=BB0_2 Depth=1
	s_andn2_saveexec_b64 s[2:3], s[20:21]
	s_cbranch_execz .LBB0_6
; %bb.5:                                ;   in Loop: Header=BB0_2 Depth=1
	v_cvt_f32_u32_e32 v5, s18
	s_sub_i32 s20, 0, s18
	v_rcp_iflag_f32_e32 v5, v5
	s_nop 0
	v_mul_f32_e32 v5, 0x4f7ffffe, v5
	v_cvt_u32_f32_e32 v5, v5
	v_mul_lo_u32 v8, s20, v5
	v_mul_hi_u32 v8, v5, v8
	v_add_u32_e32 v5, v5, v8
	v_mul_hi_u32 v5, v6, v5
	v_mul_lo_u32 v8, v5, s18
	v_sub_u32_e32 v8, v6, v8
	v_add_u32_e32 v9, 1, v5
	v_subrev_u32_e32 v10, s18, v8
	v_cmp_le_u32_e32 vcc, s18, v8
	s_nop 1
	v_cndmask_b32_e32 v8, v8, v10, vcc
	v_cndmask_b32_e32 v5, v5, v9, vcc
	v_add_u32_e32 v9, 1, v5
	v_cmp_le_u32_e32 vcc, s18, v8
	s_nop 1
	v_cndmask_b32_e32 v8, v5, v9, vcc
	v_mov_b32_e32 v9, v4
.LBB0_6:                                ;   in Loop: Header=BB0_2 Depth=1
	s_or_b64 exec, exec, s[2:3]
	v_mad_u64_u32 v[10:11], s[2:3], v8, s18, 0
	s_load_dwordx2 s[2:3], s[12:13], 0x0
	v_mul_lo_u32 v5, v9, s18
	v_mul_lo_u32 v12, v8, s19
	v_add3_u32 v5, v11, v12, v5
	v_sub_co_u32_e32 v6, vcc, v6, v10
	s_add_u32 s14, s14, 1
	s_nop 0
	v_subb_co_u32_e32 v5, vcc, v7, v5, vcc
	s_addc_u32 s15, s15, 0
	s_waitcnt lgkmcnt(0)
	v_mul_lo_u32 v5, s2, v5
	v_mul_lo_u32 v7, s3, v6
	v_mad_u64_u32 v[2:3], s[2:3], s2, v6, v[2:3]
	s_add_u32 s12, s12, 8
	v_add3_u32 v3, v7, v3, v5
	s_addc_u32 s13, s13, 0
	v_mov_b64_e32 v[6:7], s[6:7]
	s_add_u32 s16, s16, 8
	v_cmp_ge_u64_e32 vcc, s[14:15], v[6:7]
	s_addc_u32 s17, s17, 0
	s_cbranch_vccnz .LBB0_9
; %bb.7:                                ;   in Loop: Header=BB0_2 Depth=1
	v_mov_b64_e32 v[6:7], v[8:9]
	s_branch .LBB0_2
.LBB0_8:
	v_mov_b64_e32 v[8:9], v[6:7]
.LBB0_9:
	s_lshl_b64 s[2:3], s[6:7], 3
	s_add_u32 s2, s10, s2
	s_addc_u32 s3, s11, s3
	s_load_dwordx2 s[6:7], s[2:3], 0x0
	s_load_dwordx2 s[10:11], s[0:1], 0x20
	v_and_b32_e32 v1, 1, v1
	s_mov_b32 s2, 0x2222223
	v_cmp_eq_u32_e32 vcc, 1, v1
	s_waitcnt lgkmcnt(0)
	v_mul_lo_u32 v4, s6, v9
	v_mul_lo_u32 v5, s7, v8
	v_mad_u64_u32 v[2:3], s[0:1], s6, v8, v[2:3]
	v_mul_hi_u32 v1, v0, s2
	v_add3_u32 v3, v5, v3, v4
	v_mov_b32_e32 v4, 0x781
	v_mul_u32_u24_e32 v1, 0x78, v1
	v_cndmask_b32_e32 v108, 0, v4, vcc
	v_sub_u32_e32 v88, v0, v1
	v_cmp_gt_u64_e64 s[0:1], s[10:11], v[8:9]
	v_mov_b32_e32 v89, 0
	v_lshl_add_u64 v[84:85], v[2:3], 4, s[8:9]
	v_lshlrev_b32_e32 v106, 4, v108
	v_mov_b32_e32 v86, v88
	s_and_saveexec_b64 s[2:3], s[0:1]
	s_cbranch_execz .LBB0_13
; %bb.10:
	v_lshl_add_u64 v[0:1], v[88:89], 4, v[84:85]
	v_add_co_u32_e32 v2, vcc, 0x1000, v0
	global_load_dwordx4 v[4:7], v[0:1], off
	global_load_dwordx4 v[8:11], v[0:1], off offset:1920
	v_addc_co_u32_e32 v3, vcc, 0, v1, vcc
	v_add_co_u32_e32 v36, vcc, 0x2000, v0
	global_load_dwordx4 v[12:15], v[0:1], off offset:3840
	global_load_dwordx4 v[16:19], v[2:3], off offset:1664
	v_addc_co_u32_e32 v37, vcc, 0, v1, vcc
	v_add_co_u32_e32 v44, vcc, 0x3000, v0
	global_load_dwordx4 v[20:23], v[2:3], off offset:3584
	;; [unrolled: 4-line block ×6, first 2 shown]
	global_load_dwordx4 v[56:59], v[68:69], off offset:384
	v_addc_co_u32_e32 v1, vcc, 0, v1, vcc
	global_load_dwordx4 v[60:63], v[68:69], off offset:2304
	global_load_dwordx4 v[64:67], v[0:1], off offset:128
	v_lshlrev_b32_e32 v0, 4, v88
	s_movk_i32 s6, 0x77
	v_add3_u32 v2, 0, v106, v0
	v_cmp_eq_u32_e32 vcc, s6, v88
	v_mov_b64_e32 v[0:1], v[88:89]
	s_waitcnt vmcnt(15)
	ds_write_b128 v2, v[4:7]
	s_waitcnt vmcnt(14)
	ds_write_b128 v2, v[8:11] offset:1920
	s_waitcnt vmcnt(13)
	ds_write_b128 v2, v[12:15] offset:3840
	;; [unrolled: 2-line block ×15, first 2 shown]
	s_and_saveexec_b64 s[6:7], vcc
	s_cbranch_execz .LBB0_12
; %bb.11:
	v_add_co_u32_e32 v0, vcc, 0x7000, v84
	v_mov_b32_e32 v88, 0x77
	s_nop 0
	v_addc_co_u32_e32 v1, vcc, 0, v85, vcc
	global_load_dwordx4 v[4:7], v[0:1], off offset:2048
	v_mov_b64_e32 v[0:1], 0x77
	s_waitcnt vmcnt(0)
	ds_write_b128 v2, v[4:7] offset:28816
.LBB0_12:
	s_or_b64 exec, exec, s[6:7]
	v_mov_b32_e32 v86, v88
	v_mov_b64_e32 v[88:89], v[0:1]
.LBB0_13:
	s_or_b64 exec, exec, s[2:3]
	v_lshl_add_u32 v104, v108, 4, 0
	v_lshlrev_b32_e32 v0, 4, v86
	v_add_u32_e32 v105, v104, v0
	s_waitcnt lgkmcnt(0)
	s_barrier
	v_sub_u32_e32 v22, v104, v0
	ds_read_b64 v[0:1], v105
	ds_read_b64 v[2:3], v22 offset:30720
	s_add_u32 s2, s4, 0x7760
	s_addc_u32 s3, s5, 0
	v_cmp_ne_u32_e32 vcc, 0, v86
	s_waitcnt lgkmcnt(0)
	v_add_f64 v[12:13], v[0:1], v[2:3]
	v_add_f64 v[14:15], v[0:1], -v[2:3]
	s_and_saveexec_b64 s[6:7], vcc
	s_xor_b64 s[6:7], exec, s[6:7]
	s_cbranch_execz .LBB0_15
; %bb.14:
	v_lshl_add_u64 v[4:5], v[88:89], 4, s[2:3]
	global_load_dwordx4 v[4:7], v[4:5], off
	ds_read_b64 v[8:9], v22 offset:30728
	ds_read_b64 v[10:11], v105 offset:8
	v_add_f64 v[12:13], v[0:1], v[2:3]
	v_add_f64 v[16:17], v[0:1], -v[2:3]
	s_waitcnt lgkmcnt(0)
	v_add_f64 v[18:19], v[8:9], v[10:11]
	v_add_f64 v[2:3], v[10:11], -v[8:9]
	s_waitcnt vmcnt(0)
	v_fma_f64 v[14:15], v[18:19], v[6:7], v[2:3]
	v_fma_f64 v[0:1], -v[16:17], v[6:7], v[12:13]
	v_fma_f64 v[2:3], v[18:19], v[6:7], -v[2:3]
	v_fma_f64 v[8:9], v[16:17], v[6:7], v[12:13]
	v_fmac_f64_e32 v[0:1], v[18:19], v[4:5]
	v_fmac_f64_e32 v[2:3], v[16:17], v[4:5]
	v_fma_f64 v[12:13], -v[18:19], v[4:5], v[8:9]
	v_fmac_f64_e32 v[14:15], v[16:17], v[4:5]
	ds_write_b128 v22, v[0:3] offset:30720
.LBB0_15:
	s_andn2_saveexec_b64 s[6:7], s[6:7]
	s_cbranch_execz .LBB0_17
; %bb.16:
	ds_read_b128 v[0:3], v104 offset:15360
	s_waitcnt lgkmcnt(0)
	v_add_f64 v[0:1], v[0:1], v[0:1]
	v_mul_f64 v[2:3], v[2:3], -2.0
	ds_write_b128 v104, v[0:3] offset:15360
.LBB0_17:
	s_or_b64 exec, exec, s[6:7]
	v_mov_b32_e32 v87, 0
	v_lshl_add_u64 v[20:21], v[86:87], 4, s[2:3]
	global_load_dwordx4 v[16:19], v[20:21], off offset:1920
	global_load_dwordx4 v[0:3], v[20:21], off offset:3840
	s_movk_i32 s2, 0x1000
	v_add_co_u32_e32 v24, vcc, s2, v20
	s_movk_i32 s2, 0x2000
	s_nop 0
	v_addc_co_u32_e32 v25, vcc, 0, v21, vcc
	global_load_dwordx4 v[4:7], v[24:25], off offset:1664
	global_load_dwordx4 v[8:11], v[24:25], off offset:3584
	v_add_co_u32_e32 v32, vcc, s2, v20
	ds_write_b128 v105, v[12:15]
	s_nop 0
	v_addc_co_u32_e32 v33, vcc, 0, v21, vcc
	ds_read_b128 v[24:27], v105 offset:1920
	ds_read_b128 v[28:31], v22 offset:28800
	global_load_dwordx4 v[12:15], v[32:33], off offset:1408
	s_movk_i32 s2, 0x3000
	v_add_co_u32_e32 v20, vcc, s2, v20
	s_waitcnt lgkmcnt(0)
	v_add_f64 v[34:35], v[24:25], v[28:29]
	v_add_f64 v[36:37], v[30:31], v[26:27]
	v_add_f64 v[38:39], v[24:25], -v[28:29]
	v_add_f64 v[24:25], v[26:27], -v[30:31]
	v_addc_co_u32_e32 v21, vcc, 0, v21, vcc
	s_mov_b32 s6, 0x134454ff
	s_mov_b32 s7, 0x3fee6f0e
	;; [unrolled: 1-line block ×12, first 2 shown]
	s_waitcnt vmcnt(4)
	v_fma_f64 v[40:41], v[38:39], v[18:19], v[34:35]
	v_fma_f64 v[26:27], v[36:37], v[18:19], v[24:25]
	v_fma_f64 v[28:29], -v[38:39], v[18:19], v[34:35]
	v_fma_f64 v[30:31], v[36:37], v[18:19], -v[24:25]
	v_fma_f64 v[24:25], -v[36:37], v[16:17], v[40:41]
	v_fmac_f64_e32 v[26:27], v[38:39], v[16:17]
	v_fmac_f64_e32 v[28:29], v[36:37], v[16:17]
	;; [unrolled: 1-line block ×3, first 2 shown]
	ds_write_b128 v105, v[24:27] offset:1920
	ds_write_b128 v22, v[28:31] offset:28800
	ds_read_b128 v[16:19], v105 offset:3840
	ds_read_b128 v[24:27], v22 offset:26880
	global_load_dwordx4 v[28:31], v[32:33], off offset:3328
	s_waitcnt lgkmcnt(0)
	v_add_f64 v[32:33], v[16:17], v[24:25]
	v_add_f64 v[34:35], v[26:27], v[18:19]
	v_add_f64 v[36:37], v[16:17], -v[24:25]
	v_add_f64 v[16:17], v[18:19], -v[26:27]
	s_waitcnt vmcnt(4)
	v_fma_f64 v[38:39], v[36:37], v[2:3], v[32:33]
	v_fma_f64 v[18:19], v[34:35], v[2:3], v[16:17]
	v_fma_f64 v[24:25], -v[36:37], v[2:3], v[32:33]
	v_fma_f64 v[26:27], v[34:35], v[2:3], -v[16:17]
	v_fma_f64 v[16:17], -v[34:35], v[0:1], v[38:39]
	v_fmac_f64_e32 v[18:19], v[36:37], v[0:1]
	v_fmac_f64_e32 v[24:25], v[34:35], v[0:1]
	v_fmac_f64_e32 v[26:27], v[36:37], v[0:1]
	ds_write_b128 v105, v[16:19] offset:3840
	ds_write_b128 v22, v[24:27] offset:26880
	ds_read_b128 v[0:3], v105 offset:5760
	ds_read_b128 v[16:19], v22 offset:24960
	global_load_dwordx4 v[24:27], v[20:21], off offset:1152
	s_waitcnt lgkmcnt(0)
	v_add_f64 v[20:21], v[0:1], v[16:17]
	v_add_f64 v[32:33], v[18:19], v[2:3]
	v_add_f64 v[34:35], v[0:1], -v[16:17]
	v_add_f64 v[0:1], v[2:3], -v[18:19]
	s_waitcnt vmcnt(4)
	v_fma_f64 v[36:37], v[34:35], v[6:7], v[20:21]
	v_fma_f64 v[2:3], v[32:33], v[6:7], v[0:1]
	v_fma_f64 v[16:17], -v[34:35], v[6:7], v[20:21]
	v_fma_f64 v[18:19], v[32:33], v[6:7], -v[0:1]
	v_fma_f64 v[0:1], -v[32:33], v[4:5], v[36:37]
	v_fmac_f64_e32 v[2:3], v[34:35], v[4:5]
	v_fmac_f64_e32 v[16:17], v[32:33], v[4:5]
	v_fmac_f64_e32 v[18:19], v[34:35], v[4:5]
	ds_write_b128 v105, v[0:3] offset:5760
	ds_write_b128 v22, v[16:19] offset:24960
	ds_read_b128 v[0:3], v105 offset:7680
	ds_read_b128 v[4:7], v22 offset:23040
	s_waitcnt lgkmcnt(0)
	v_add_f64 v[16:17], v[0:1], v[4:5]
	v_add_f64 v[18:19], v[6:7], v[2:3]
	v_add_f64 v[20:21], v[0:1], -v[4:5]
	v_add_f64 v[0:1], v[2:3], -v[6:7]
	s_waitcnt vmcnt(3)
	v_fma_f64 v[32:33], v[20:21], v[10:11], v[16:17]
	v_fma_f64 v[2:3], v[18:19], v[10:11], v[0:1]
	v_fma_f64 v[4:5], -v[20:21], v[10:11], v[16:17]
	v_fma_f64 v[6:7], v[18:19], v[10:11], -v[0:1]
	v_fma_f64 v[0:1], -v[18:19], v[8:9], v[32:33]
	v_fmac_f64_e32 v[2:3], v[20:21], v[8:9]
	v_fmac_f64_e32 v[4:5], v[18:19], v[8:9]
	v_fmac_f64_e32 v[6:7], v[20:21], v[8:9]
	ds_write_b128 v105, v[0:3] offset:7680
	ds_write_b128 v22, v[4:7] offset:23040
	ds_read_b128 v[0:3], v105 offset:9600
	ds_read_b128 v[4:7], v22 offset:21120
	;; [unrolled: 18-line block ×4, first 2 shown]
	s_waitcnt lgkmcnt(0)
	v_add_f64 v[8:9], v[0:1], v[4:5]
	v_add_f64 v[10:11], v[6:7], v[2:3]
	v_add_f64 v[12:13], v[0:1], -v[4:5]
	v_add_f64 v[0:1], v[2:3], -v[6:7]
	s_waitcnt vmcnt(0)
	v_fma_f64 v[14:15], v[12:13], v[26:27], v[8:9]
	v_fma_f64 v[2:3], v[10:11], v[26:27], v[0:1]
	v_fma_f64 v[4:5], -v[12:13], v[26:27], v[8:9]
	v_fma_f64 v[6:7], v[10:11], v[26:27], -v[0:1]
	v_fma_f64 v[0:1], -v[10:11], v[24:25], v[14:15]
	v_fmac_f64_e32 v[2:3], v[12:13], v[24:25]
	v_fmac_f64_e32 v[4:5], v[10:11], v[24:25]
	;; [unrolled: 1-line block ×3, first 2 shown]
	ds_write_b128 v105, v[0:3] offset:13440
	ds_write_b128 v22, v[4:7] offset:17280
	v_lshl_add_u32 v0, v86, 4, 0
	s_waitcnt lgkmcnt(0)
	s_barrier
	s_barrier
	v_add_u32_e32 v107, v0, v106
	ds_read_b128 v[44:47], v105
	ds_read_b128 v[4:7], v107 offset:1920
	ds_read_b128 v[52:55], v107 offset:3072
	;; [unrolled: 1-line block ×19, first 2 shown]
	s_waitcnt lgkmcnt(14)
	v_add_f64 v[12:13], v[44:45], v[48:49]
	s_waitcnt lgkmcnt(11)
	v_add_f64 v[12:13], v[12:13], v[92:93]
	;; [unrolled: 2-line block ×4, first 2 shown]
	v_add_f64 v[12:13], v[92:93], v[96:97]
	v_fma_f64 v[62:63], -0.5, v[12:13], v[44:45]
	v_add_f64 v[12:13], v[50:51], -v[102:103]
	v_fma_f64 v[72:73], s[6:7], v[12:13], v[62:63]
	v_add_f64 v[42:43], v[94:95], -v[98:99]
	v_add_f64 v[74:75], v[48:49], -v[92:93]
	;; [unrolled: 1-line block ×3, first 2 shown]
	v_fmac_f64_e32 v[62:63], s[8:9], v[12:13]
	v_fmac_f64_e32 v[72:73], s[12:13], v[42:43]
	v_add_f64 v[74:75], v[74:75], v[80:81]
	v_fmac_f64_e32 v[62:63], s[10:11], v[42:43]
	v_fmac_f64_e32 v[72:73], s[2:3], v[74:75]
	;; [unrolled: 1-line block ×3, first 2 shown]
	v_add_f64 v[74:75], v[48:49], v[100:101]
	v_fmac_f64_e32 v[44:45], -0.5, v[74:75]
	v_fma_f64 v[82:83], s[8:9], v[42:43], v[44:45]
	v_fmac_f64_e32 v[44:45], s[6:7], v[42:43]
	v_fmac_f64_e32 v[82:83], s[12:13], v[12:13]
	v_fmac_f64_e32 v[44:45], s[10:11], v[12:13]
	v_add_f64 v[12:13], v[46:47], v[50:51]
	v_add_f64 v[74:75], v[92:93], -v[48:49]
	v_add_f64 v[80:81], v[96:97], -v[100:101]
	v_add_f64 v[12:13], v[12:13], v[94:95]
	v_add_f64 v[74:75], v[74:75], v[80:81]
	;; [unrolled: 1-line block ×3, first 2 shown]
	v_fmac_f64_e32 v[82:83], s[2:3], v[74:75]
	v_fmac_f64_e32 v[44:45], s[2:3], v[74:75]
	v_add_f64 v[74:75], v[12:13], v[102:103]
	v_add_f64 v[12:13], v[94:95], v[98:99]
	v_fma_f64 v[12:13], -0.5, v[12:13], v[46:47]
	v_add_f64 v[42:43], v[48:49], -v[100:101]
	v_fma_f64 v[90:91], s[8:9], v[42:43], v[12:13]
	v_add_f64 v[48:49], v[92:93], -v[96:97]
	v_add_f64 v[80:81], v[50:51], -v[94:95]
	;; [unrolled: 1-line block ×3, first 2 shown]
	v_fmac_f64_e32 v[12:13], s[6:7], v[42:43]
	v_fmac_f64_e32 v[90:91], s[10:11], v[48:49]
	v_add_f64 v[80:81], v[80:81], v[92:93]
	v_fmac_f64_e32 v[12:13], s[12:13], v[48:49]
	v_fmac_f64_e32 v[90:91], s[2:3], v[80:81]
	;; [unrolled: 1-line block ×3, first 2 shown]
	v_add_f64 v[80:81], v[50:51], v[102:103]
	v_fmac_f64_e32 v[46:47], -0.5, v[80:81]
	v_fma_f64 v[92:93], s[6:7], v[48:49], v[46:47]
	v_fmac_f64_e32 v[46:47], s[8:9], v[48:49]
	v_fmac_f64_e32 v[92:93], s[10:11], v[42:43]
	;; [unrolled: 1-line block ×3, first 2 shown]
	v_add_f64 v[42:43], v[52:53], v[26:27]
	v_add_f64 v[42:43], v[42:43], v[30:31]
	v_add_f64 v[50:51], v[94:95], -v[50:51]
	v_add_f64 v[80:81], v[98:99], -v[102:103]
	v_add_f64 v[42:43], v[42:43], v[34:35]
	v_add_f64 v[50:51], v[50:51], v[80:81]
	s_waitcnt lgkmcnt(1)
	v_add_f64 v[80:81], v[42:43], v[38:39]
	v_add_f64 v[42:43], v[30:31], v[34:35]
	v_fma_f64 v[94:95], -0.5, v[42:43], v[52:53]
	v_add_f64 v[42:43], v[28:29], -v[40:41]
	v_fmac_f64_e32 v[92:93], s[2:3], v[50:51]
	v_fmac_f64_e32 v[46:47], s[2:3], v[50:51]
	v_fma_f64 v[96:97], s[6:7], v[42:43], v[94:95]
	v_add_f64 v[48:49], v[32:33], -v[36:37]
	v_add_f64 v[50:51], v[26:27], -v[30:31]
	;; [unrolled: 1-line block ×3, first 2 shown]
	v_fmac_f64_e32 v[94:95], s[8:9], v[42:43]
	v_fmac_f64_e32 v[96:97], s[12:13], v[48:49]
	v_add_f64 v[50:51], v[50:51], v[98:99]
	v_fmac_f64_e32 v[94:95], s[10:11], v[48:49]
	v_fmac_f64_e32 v[96:97], s[2:3], v[50:51]
	;; [unrolled: 1-line block ×3, first 2 shown]
	v_add_f64 v[50:51], v[26:27], v[38:39]
	v_fmac_f64_e32 v[52:53], -0.5, v[50:51]
	v_fma_f64 v[98:99], s[8:9], v[48:49], v[52:53]
	v_fmac_f64_e32 v[52:53], s[6:7], v[48:49]
	v_fmac_f64_e32 v[98:99], s[12:13], v[42:43]
	;; [unrolled: 1-line block ×3, first 2 shown]
	v_add_f64 v[42:43], v[54:55], v[28:29]
	v_add_f64 v[42:43], v[42:43], v[32:33]
	v_add_f64 v[50:51], v[30:31], -v[26:27]
	v_add_f64 v[100:101], v[34:35], -v[38:39]
	v_add_f64 v[42:43], v[42:43], v[36:37]
	v_add_f64 v[50:51], v[50:51], v[100:101]
	;; [unrolled: 1-line block ×4, first 2 shown]
	v_fma_f64 v[102:103], -0.5, v[42:43], v[54:55]
	v_add_f64 v[26:27], v[26:27], -v[38:39]
	v_fma_f64 v[38:39], s[8:9], v[26:27], v[102:103]
	v_add_f64 v[30:31], v[30:31], -v[34:35]
	v_add_f64 v[34:35], v[28:29], -v[32:33]
	;; [unrolled: 1-line block ×3, first 2 shown]
	v_fmac_f64_e32 v[102:103], s[6:7], v[26:27]
	v_fmac_f64_e32 v[38:39], s[10:11], v[30:31]
	v_add_f64 v[34:35], v[34:35], v[42:43]
	v_fmac_f64_e32 v[102:103], s[12:13], v[30:31]
	v_fmac_f64_e32 v[38:39], s[2:3], v[34:35]
	;; [unrolled: 1-line block ×3, first 2 shown]
	v_add_f64 v[34:35], v[28:29], v[40:41]
	v_fmac_f64_e32 v[54:55], -0.5, v[34:35]
	v_fma_f64 v[42:43], s[6:7], v[30:31], v[54:55]
	v_add_f64 v[28:29], v[32:33], -v[28:29]
	v_add_f64 v[32:33], v[36:37], -v[40:41]
	v_fmac_f64_e32 v[54:55], s[8:9], v[30:31]
	v_add_f64 v[28:29], v[28:29], v[32:33]
	v_fmac_f64_e32 v[54:55], s[12:13], v[26:27]
	v_fmac_f64_e32 v[52:53], s[2:3], v[50:51]
	;; [unrolled: 1-line block ×4, first 2 shown]
	v_mul_f64 v[26:27], v[96:97], s[14:15]
	v_mul_f64 v[96:97], v[96:97], s[10:11]
	v_fmac_f64_e32 v[42:43], s[2:3], v[28:29]
	v_fmac_f64_e32 v[26:27], s[12:13], v[38:39]
	v_mul_f64 v[30:31], v[52:53], s[2:3]
	v_fmac_f64_e32 v[96:97], s[14:15], v[38:39]
	v_mul_f64 v[38:39], v[54:55], s[2:3]
	;; [unrolled: 2-line block ×3, first 2 shown]
	v_fma_f64 v[112:113], v[54:55], s[6:7], -v[30:31]
	v_fma_f64 v[54:55], v[52:53], s[8:9], -v[38:39]
	v_mul_f64 v[38:39], v[102:103], s[14:15]
	v_fmac_f64_e32 v[110:111], s[2:3], v[98:99]
	v_mul_f64 v[30:31], v[94:95], s[14:15]
	v_mul_f64 v[98:99], v[98:99], s[8:9]
	v_fma_f64 v[94:95], v[94:95], s[10:11], -v[38:39]
	v_fmac_f64_e32 v[98:99], s[2:3], v[42:43]
	v_add_f64 v[42:43], v[46:47], v[54:55]
	v_add_f64 v[38:39], v[12:13], v[94:95]
	v_add_f64 v[54:55], v[46:47], -v[54:55]
	v_add_f64 v[46:47], v[12:13], -v[94:95]
	v_add_f64 v[12:13], v[4:5], v[56:57]
	v_add_f64 v[12:13], v[12:13], v[64:65]
	;; [unrolled: 1-line block ×7, first 2 shown]
	v_add_f64 v[80:81], v[60:61], -v[80:81]
	v_add_f64 v[60:61], v[82:83], -v[110:111]
	;; [unrolled: 1-line block ×4, first 2 shown]
	v_add_f64 v[90:91], v[12:13], v[76:77]
	v_add_f64 v[12:13], v[64:65], v[68:69]
	v_fma_f64 v[114:115], v[102:103], s[12:13], -v[30:31]
	v_fma_f64 v[94:95], -0.5, v[12:13], v[4:5]
	v_add_f64 v[12:13], v[58:59], -v[78:79]
	v_add_f64 v[32:33], v[72:73], v[26:27]
	v_add_f64 v[40:41], v[44:45], v[112:113]
	v_add_f64 v[36:37], v[62:63], v[114:115]
	v_add_f64 v[30:31], v[92:93], v[98:99]
	v_add_f64 v[72:73], v[72:73], -v[26:27]
	v_add_f64 v[52:53], v[44:45], -v[112:113]
	;; [unrolled: 1-line block ×4, first 2 shown]
	v_fma_f64 v[92:93], s[6:7], v[12:13], v[94:95]
	v_add_f64 v[96:97], v[66:67], -v[70:71]
	v_add_f64 v[26:27], v[56:57], -v[64:65]
	;; [unrolled: 1-line block ×3, first 2 shown]
	v_fmac_f64_e32 v[94:95], s[8:9], v[12:13]
	v_fmac_f64_e32 v[92:93], s[12:13], v[96:97]
	v_add_f64 v[26:27], v[26:27], v[98:99]
	v_fmac_f64_e32 v[94:95], s[10:11], v[96:97]
	v_fmac_f64_e32 v[92:93], s[2:3], v[26:27]
	;; [unrolled: 1-line block ×3, first 2 shown]
	v_add_f64 v[26:27], v[56:57], v[76:77]
	v_fmac_f64_e32 v[4:5], -0.5, v[26:27]
	v_fma_f64 v[26:27], s[8:9], v[96:97], v[4:5]
	v_fmac_f64_e32 v[4:5], s[6:7], v[96:97]
	v_fmac_f64_e32 v[26:27], s[12:13], v[12:13]
	v_fmac_f64_e32 v[4:5], s[10:11], v[12:13]
	v_add_f64 v[12:13], v[6:7], v[58:59]
	v_add_f64 v[12:13], v[12:13], v[66:67]
	v_add_f64 v[98:99], v[64:65], -v[56:57]
	v_add_f64 v[100:101], v[68:69], -v[76:77]
	v_add_f64 v[12:13], v[12:13], v[70:71]
	v_add_f64 v[98:99], v[98:99], v[100:101]
	;; [unrolled: 1-line block ×4, first 2 shown]
	v_fmac_f64_e32 v[26:27], s[2:3], v[98:99]
	v_fmac_f64_e32 v[4:5], s[2:3], v[98:99]
	v_fma_f64 v[98:99], -0.5, v[12:13], v[6:7]
	v_add_f64 v[12:13], v[56:57], -v[76:77]
	v_fma_f64 v[56:57], s[8:9], v[12:13], v[98:99]
	v_add_f64 v[64:65], v[64:65], -v[68:69]
	v_add_f64 v[68:69], v[58:59], -v[66:67]
	;; [unrolled: 1-line block ×3, first 2 shown]
	v_fmac_f64_e32 v[98:99], s[6:7], v[12:13]
	v_fmac_f64_e32 v[56:57], s[10:11], v[64:65]
	v_add_f64 v[68:69], v[68:69], v[76:77]
	v_fmac_f64_e32 v[98:99], s[12:13], v[64:65]
	v_fmac_f64_e32 v[56:57], s[2:3], v[68:69]
	v_fmac_f64_e32 v[98:99], s[2:3], v[68:69]
	v_add_f64 v[68:69], v[58:59], v[78:79]
	v_fmac_f64_e32 v[6:7], -0.5, v[68:69]
	v_fma_f64 v[68:69], s[6:7], v[64:65], v[6:7]
	v_fmac_f64_e32 v[6:7], s[8:9], v[64:65]
	v_fmac_f64_e32 v[68:69], s[10:11], v[12:13]
	;; [unrolled: 1-line block ×3, first 2 shown]
	v_add_f64 v[12:13], v[14:15], v[0:1]
	v_add_f64 v[58:59], v[66:67], -v[58:59]
	v_add_f64 v[66:67], v[70:71], -v[78:79]
	v_add_f64 v[12:13], v[12:13], v[8:9]
	v_add_f64 v[58:59], v[58:59], v[66:67]
	;; [unrolled: 1-line block ×3, first 2 shown]
	v_fmac_f64_e32 v[68:69], s[2:3], v[58:59]
	v_fmac_f64_e32 v[6:7], s[2:3], v[58:59]
	s_waitcnt lgkmcnt(0)
	v_add_f64 v[58:59], v[12:13], v[22:23]
	v_add_f64 v[12:13], v[8:9], v[18:19]
	v_fma_f64 v[100:101], -0.5, v[12:13], v[14:15]
	v_add_f64 v[12:13], v[2:3], -v[24:25]
	v_fma_f64 v[76:77], s[6:7], v[12:13], v[100:101]
	v_add_f64 v[64:65], v[10:11], -v[20:21]
	v_add_f64 v[66:67], v[0:1], -v[8:9]
	;; [unrolled: 1-line block ×3, first 2 shown]
	v_fmac_f64_e32 v[100:101], s[8:9], v[12:13]
	v_fmac_f64_e32 v[76:77], s[12:13], v[64:65]
	v_add_f64 v[66:67], v[66:67], v[70:71]
	v_fmac_f64_e32 v[100:101], s[10:11], v[64:65]
	v_fmac_f64_e32 v[76:77], s[2:3], v[66:67]
	;; [unrolled: 1-line block ×3, first 2 shown]
	v_add_f64 v[66:67], v[0:1], v[22:23]
	v_fmac_f64_e32 v[14:15], -0.5, v[66:67]
	v_fma_f64 v[102:103], s[8:9], v[64:65], v[14:15]
	v_fmac_f64_e32 v[14:15], s[6:7], v[64:65]
	v_fmac_f64_e32 v[102:103], s[12:13], v[12:13]
	;; [unrolled: 1-line block ×3, first 2 shown]
	v_add_f64 v[12:13], v[16:17], v[2:3]
	v_add_f64 v[12:13], v[12:13], v[10:11]
	;; [unrolled: 1-line block ×5, first 2 shown]
	v_add_f64 v[66:67], v[8:9], -v[0:1]
	v_fma_f64 v[110:111], -0.5, v[12:13], v[16:17]
	v_add_f64 v[0:1], v[0:1], -v[22:23]
	v_add_f64 v[70:71], v[18:19], -v[22:23]
	v_fma_f64 v[22:23], s[8:9], v[0:1], v[110:111]
	v_add_f64 v[8:9], v[8:9], -v[18:19]
	v_add_f64 v[12:13], v[2:3], -v[10:11]
	;; [unrolled: 1-line block ×3, first 2 shown]
	v_fmac_f64_e32 v[110:111], s[6:7], v[0:1]
	v_fmac_f64_e32 v[22:23], s[10:11], v[8:9]
	v_add_f64 v[12:13], v[12:13], v[18:19]
	v_fmac_f64_e32 v[110:111], s[12:13], v[8:9]
	v_fmac_f64_e32 v[22:23], s[2:3], v[12:13]
	;; [unrolled: 1-line block ×3, first 2 shown]
	v_add_f64 v[12:13], v[2:3], v[24:25]
	v_fmac_f64_e32 v[16:17], -0.5, v[12:13]
	v_fma_f64 v[18:19], s[6:7], v[8:9], v[16:17]
	v_add_f64 v[2:3], v[10:11], -v[2:3]
	v_add_f64 v[10:11], v[20:21], -v[24:25]
	v_add_f64 v[66:67], v[66:67], v[70:71]
	v_fmac_f64_e32 v[18:19], s[10:11], v[0:1]
	v_add_f64 v[2:3], v[2:3], v[10:11]
	v_fmac_f64_e32 v[16:17], s[8:9], v[8:9]
	v_fmac_f64_e32 v[102:103], s[2:3], v[66:67]
	;; [unrolled: 1-line block ×6, first 2 shown]
	v_mul_f64 v[24:25], v[18:19], s[6:7]
	v_mul_f64 v[2:3], v[14:15], s[2:3]
	v_mul_f64 v[112:113], v[102:103], s[8:9]
	v_fmac_f64_e32 v[24:25], s[2:3], v[102:103]
	v_fma_f64 v[70:71], v[16:17], s[6:7], -v[2:3]
	v_mul_f64 v[2:3], v[100:101], s[14:15]
	v_fmac_f64_e32 v[112:113], s[2:3], v[18:19]
	v_mul_f64 v[10:11], v[16:17], s[2:3]
	v_mul_f64 v[66:67], v[76:77], s[14:15]
	v_add_f64 v[0:1], v[26:27], v[24:25]
	v_fma_f64 v[78:79], v[110:111], s[12:13], -v[2:3]
	v_mul_f64 v[76:77], v[76:77], s[10:11]
	v_add_f64 v[2:3], v[68:69], v[112:113]
	v_fma_f64 v[102:103], v[14:15], s[8:9], -v[10:11]
	v_mul_f64 v[14:15], v[110:111], s[14:15]
	v_add_f64 v[24:25], v[26:27], -v[24:25]
	v_add_f64 v[26:27], v[68:69], -v[112:113]
	v_mul_u32_u24_e32 v68, 10, v86
	v_fmac_f64_e32 v[66:67], s[12:13], v[22:23]
	v_fmac_f64_e32 v[76:77], s[14:15], v[22:23]
	v_fma_f64 v[100:101], v[100:101], s[10:11], -v[14:15]
	v_lshl_add_u32 v68, v68, 4, 0
	s_movk_i32 s2, 0x48
	v_add_f64 v[8:9], v[4:5], v[70:71]
	v_add_f64 v[12:13], v[94:95], v[78:79]
	;; [unrolled: 1-line block ×4, first 2 shown]
	v_add_f64 v[16:17], v[90:91], -v[58:59]
	v_add_f64 v[20:21], v[92:93], -v[66:67]
	;; [unrolled: 1-line block ×4, first 2 shown]
	v_add_u32_e32 v69, v68, v106
	v_cmp_gt_u32_e32 vcc, s2, v86
	s_barrier
	ds_write_b128 v69, v[48:51]
	ds_write_b128 v69, v[32:35] offset:16
	ds_write_b128 v69, v[28:31] offset:32
	;; [unrolled: 1-line block ×9, first 2 shown]
	s_and_saveexec_b64 s[2:3], vcc
	s_cbranch_execz .LBB0_19
; %bb.18:
	v_add_f64 v[38:39], v[96:97], v[64:65]
	v_add_f64 v[36:37], v[90:91], v[58:59]
	v_lshl_add_u32 v40, v108, 4, v68
	v_add_f64 v[30:31], v[98:99], -v[100:101]
	v_add_f64 v[6:7], v[6:7], -v[102:103]
	;; [unrolled: 1-line block ×4, first 2 shown]
	v_add_f64 v[34:35], v[56:57], v[76:77]
	v_add_f64 v[32:33], v[92:93], v[66:67]
	ds_write_b128 v40, v[36:39] offset:19200
	ds_write_b128 v40, v[32:35] offset:19216
	;; [unrolled: 1-line block ×10, first 2 shown]
.LBB0_19:
	s_or_b64 exec, exec, s[2:3]
	s_waitcnt lgkmcnt(0)
	s_barrier
	ds_read_b128 v[28:31], v105
	ds_read_b128 v[4:7], v107 offset:1920
	ds_read_b128 v[68:71], v107 offset:5120
	;; [unrolled: 1-line block ×11, first 2 shown]
	s_movk_i32 s2, 0x50
	v_cmp_gt_u32_e32 vcc, s2, v86
	s_and_saveexec_b64 s[2:3], vcc
	s_cbranch_execz .LBB0_21
; %bb.20:
	ds_read_b128 v[0:3], v107 offset:3840
	ds_read_b128 v[8:11], v107 offset:8960
	;; [unrolled: 1-line block ×6, first 2 shown]
.LBB0_21:
	s_or_b64 exec, exec, s[2:3]
	s_movk_i32 s2, 0xcd
	v_mul_lo_u16_sdwa v72, v86, s2 dst_sel:DWORD dst_unused:UNUSED_PAD src0_sel:BYTE_0 src1_sel:DWORD
	v_lshrrev_b16_e32 v76, 11, v72
	v_mul_lo_u16_e32 v72, 10, v76
	v_sub_u16_e32 v77, v86, v72
	v_mov_b32_e32 v82, 5
	v_mul_u32_u24_sdwa v72, v77, v82 dst_sel:DWORD dst_unused:UNUSED_PAD src0_sel:BYTE_0 src1_sel:DWORD
	v_lshlrev_b32_e32 v83, 4, v72
	global_load_dwordx4 v[78:81], v83, s[4:5] offset:48
	global_load_dwordx4 v[90:93], v83, s[4:5] offset:32
	;; [unrolled: 1-line block ×3, first 2 shown]
	global_load_dwordx4 v[98:101], v83, s[4:5]
	s_mov_b32 s7, 0xbfebb67a
	s_movk_i32 s8, 0x3c0
	s_waitcnt vmcnt(1) lgkmcnt(7)
	v_mul_f64 v[74:75], v[64:65], v[96:97]
	s_waitcnt vmcnt(0)
	v_mul_f64 v[72:73], v[70:71], v[100:101]
	v_fma_f64 v[72:73], v[68:69], v[98:99], -v[72:73]
	v_mul_f64 v[68:69], v[68:69], v[100:101]
	v_fmac_f64_e32 v[68:69], v[70:71], v[98:99]
	v_mul_f64 v[70:71], v[66:67], v[96:97]
	v_fma_f64 v[70:71], v[64:65], v[94:95], -v[70:71]
	s_waitcnt lgkmcnt(5)
	v_mul_f64 v[64:65], v[62:63], v[92:93]
	v_fma_f64 v[64:65], v[60:61], v[90:91], -v[64:65]
	v_mul_f64 v[60:61], v[60:61], v[92:93]
	v_fmac_f64_e32 v[74:75], v[66:67], v[94:95]
	v_fmac_f64_e32 v[60:61], v[62:63], v[90:91]
	s_waitcnt lgkmcnt(3)
	v_mul_f64 v[62:63], v[58:59], v[80:81]
	v_mul_f64 v[66:67], v[56:57], v[80:81]
	v_fma_f64 v[62:63], v[56:57], v[78:79], -v[62:63]
	v_fmac_f64_e32 v[66:67], v[58:59], v[78:79]
	global_load_dwordx4 v[78:81], v83, s[4:5] offset:64
	s_waitcnt vmcnt(0) lgkmcnt(1)
	v_mul_f64 v[56:57], v[54:55], v[80:81]
	v_fma_f64 v[56:57], v[52:53], v[78:79], -v[56:57]
	v_mul_f64 v[58:59], v[52:53], v[80:81]
	v_add_u16_e32 v52, 0x78, v86
	v_mul_lo_u16_sdwa v53, v52, s2 dst_sel:DWORD dst_unused:UNUSED_PAD src0_sel:BYTE_0 src1_sel:DWORD
	v_lshrrev_b16_e32 v102, 11, v53
	v_mul_lo_u16_e32 v53, 10, v102
	v_sub_u16_e32 v103, v52, v53
	v_mul_u32_u24_sdwa v52, v103, v82 dst_sel:DWORD dst_unused:UNUSED_PAD src0_sel:BYTE_0 src1_sel:DWORD
	v_lshlrev_b32_e32 v82, 4, v52
	v_fmac_f64_e32 v[58:59], v[54:55], v[78:79]
	global_load_dwordx4 v[78:81], v82, s[4:5] offset:48
	global_load_dwordx4 v[90:93], v82, s[4:5] offset:32
	;; [unrolled: 1-line block ×3, first 2 shown]
	global_load_dwordx4 v[98:101], v82, s[4:5]
	s_mov_b32 s2, 0xe8584caa
	s_mov_b32 s3, 0x3febb67a
	;; [unrolled: 1-line block ×3, first 2 shown]
	s_waitcnt vmcnt(1)
	v_mul_f64 v[54:55], v[44:45], v[96:97]
	s_waitcnt vmcnt(0)
	v_mul_f64 v[52:53], v[50:51], v[100:101]
	v_fma_f64 v[52:53], v[48:49], v[98:99], -v[52:53]
	v_mul_f64 v[48:49], v[48:49], v[100:101]
	v_fmac_f64_e32 v[48:49], v[50:51], v[98:99]
	v_mul_f64 v[50:51], v[46:47], v[96:97]
	v_fma_f64 v[50:51], v[44:45], v[94:95], -v[50:51]
	v_mul_f64 v[44:45], v[42:43], v[92:93]
	v_fma_f64 v[44:45], v[40:41], v[90:91], -v[44:45]
	v_mul_f64 v[40:41], v[40:41], v[92:93]
	v_fmac_f64_e32 v[40:41], v[42:43], v[90:91]
	v_mul_f64 v[42:43], v[38:39], v[80:81]
	v_fma_f64 v[42:43], v[36:37], v[78:79], -v[42:43]
	v_mul_f64 v[36:37], v[36:37], v[80:81]
	v_fmac_f64_e32 v[36:37], v[38:39], v[78:79]
	global_load_dwordx4 v[78:81], v82, s[4:5] offset:64
	v_fmac_f64_e32 v[54:55], v[46:47], v[94:95]
	v_add_f64 v[46:47], v[70:71], v[62:63]
	s_waitcnt lgkmcnt(0)
	s_barrier
	s_waitcnt vmcnt(0)
	v_mul_f64 v[38:39], v[34:35], v[80:81]
	v_fma_f64 v[38:39], v[32:33], v[78:79], -v[38:39]
	v_mul_f64 v[32:33], v[32:33], v[80:81]
	v_fmac_f64_e32 v[32:33], v[34:35], v[78:79]
	v_add_f64 v[34:35], v[28:29], v[70:71]
	v_fmac_f64_e32 v[28:29], -0.5, v[46:47]
	v_add_f64 v[46:47], v[74:75], -v[66:67]
	v_fma_f64 v[78:79], s[2:3], v[46:47], v[28:29]
	v_fmac_f64_e32 v[28:29], s[6:7], v[46:47]
	v_add_f64 v[46:47], v[30:31], v[74:75]
	v_add_f64 v[46:47], v[46:47], v[66:67]
	;; [unrolled: 1-line block ×4, first 2 shown]
	v_fmac_f64_e32 v[30:31], -0.5, v[66:67]
	v_add_f64 v[62:63], v[70:71], -v[62:63]
	v_fma_f64 v[74:75], s[6:7], v[62:63], v[30:31]
	v_fmac_f64_e32 v[30:31], s[2:3], v[62:63]
	v_add_f64 v[62:63], v[72:73], v[64:65]
	v_add_f64 v[70:71], v[62:63], v[56:57]
	;; [unrolled: 1-line block ×3, first 2 shown]
	v_fmac_f64_e32 v[72:73], -0.5, v[62:63]
	v_add_f64 v[62:63], v[60:61], -v[58:59]
	v_fma_f64 v[66:67], s[2:3], v[62:63], v[72:73]
	v_fmac_f64_e32 v[72:73], s[6:7], v[62:63]
	v_add_f64 v[62:63], v[68:69], v[60:61]
	v_add_f64 v[80:81], v[62:63], v[58:59]
	;; [unrolled: 1-line block ×3, first 2 shown]
	v_fmac_f64_e32 v[68:69], -0.5, v[58:59]
	v_add_f64 v[56:57], v[64:65], -v[56:57]
	v_fma_f64 v[62:63], s[6:7], v[56:57], v[68:69]
	v_fmac_f64_e32 v[68:69], s[2:3], v[56:57]
	v_mul_f64 v[90:91], v[72:73], -0.5
	v_add_f64 v[56:57], v[34:35], v[70:71]
	v_fmac_f64_e32 v[90:91], s[2:3], v[68:69]
	v_mul_f64 v[94:95], v[68:69], -0.5
	v_add_f64 v[68:69], v[34:35], -v[70:71]
	v_add_f64 v[34:35], v[4:5], v[50:51]
	v_mul_f64 v[82:83], v[62:63], s[2:3]
	v_add_f64 v[58:59], v[46:47], v[80:81]
	v_add_f64 v[70:71], v[46:47], -v[80:81]
	v_add_f64 v[46:47], v[34:35], v[42:43]
	v_add_f64 v[34:35], v[50:51], v[42:43]
	v_fmac_f64_e32 v[82:83], 0.5, v[66:67]
	v_fmac_f64_e32 v[4:5], -0.5, v[34:35]
	v_add_f64 v[34:35], v[54:55], -v[36:37]
	v_add_f64 v[60:61], v[78:79], v[82:83]
	v_fmac_f64_e32 v[94:95], s[6:7], v[72:73]
	v_add_f64 v[72:73], v[78:79], -v[82:83]
	v_fma_f64 v[78:79], s[2:3], v[34:35], v[4:5]
	v_fmac_f64_e32 v[4:5], s[6:7], v[34:35]
	v_add_f64 v[34:35], v[6:7], v[54:55]
	v_add_f64 v[80:81], v[34:35], v[36:37]
	v_add_f64 v[34:35], v[54:55], v[36:37]
	v_fmac_f64_e32 v[6:7], -0.5, v[34:35]
	v_add_f64 v[34:35], v[50:51], -v[42:43]
	v_fma_f64 v[50:51], s[6:7], v[34:35], v[6:7]
	v_fmac_f64_e32 v[6:7], s[2:3], v[34:35]
	v_add_f64 v[34:35], v[52:53], v[44:45]
	v_add_f64 v[54:55], v[34:35], v[38:39]
	v_add_f64 v[34:35], v[44:45], v[38:39]
	v_fmac_f64_e32 v[52:53], -0.5, v[34:35]
	;; [unrolled: 7-line block ×3, first 2 shown]
	v_add_f64 v[32:33], v[44:45], -v[38:39]
	v_mul_f64 v[92:93], v[66:67], s[6:7]
	v_fma_f64 v[38:39], s[6:7], v[32:33], v[48:49]
	v_fmac_f64_e32 v[48:49], s[2:3], v[32:33]
	v_fmac_f64_e32 v[92:93], 0.5, v[62:63]
	v_mul_f64 v[96:97], v[48:49], -0.5
	v_add_f64 v[62:63], v[74:75], v[92:93]
	v_add_f64 v[74:75], v[74:75], -v[92:93]
	v_mul_f64 v[92:93], v[52:53], -0.5
	v_fmac_f64_e32 v[96:97], s[6:7], v[52:53]
	v_mov_b32_e32 v53, 4
	v_add_f64 v[32:33], v[46:47], v[54:55]
	v_add_f64 v[44:45], v[46:47], -v[54:55]
	v_mad_u32_u24 v52, v76, s8, 0
	v_lshlrev_b32_sdwa v54, v53, v77 dst_sel:DWORD dst_unused:UNUSED_PAD src0_sel:DWORD src1_sel:BYTE_0
	v_add_f64 v[64:65], v[28:29], v[90:91]
	v_add_f64 v[28:29], v[28:29], -v[90:91]
	v_add3_u32 v52, v52, v54, v106
	v_add_f64 v[66:67], v[30:31], v[94:95]
	v_add_f64 v[30:31], v[30:31], -v[94:95]
	v_mul_f64 v[90:91], v[38:39], s[2:3]
	v_mul_f64 v[94:95], v[42:43], s[6:7]
	ds_write_b128 v52, v[56:59]
	ds_write_b128 v52, v[60:63] offset:160
	ds_write_b128 v52, v[64:67] offset:320
	;; [unrolled: 1-line block ×5, first 2 shown]
	v_mad_u32_u24 v28, v102, s8, 0
	v_lshlrev_b32_sdwa v29, v53, v103 dst_sel:DWORD dst_unused:UNUSED_PAD src0_sel:DWORD src1_sel:BYTE_0
	v_fmac_f64_e32 v[90:91], 0.5, v[42:43]
	v_fmac_f64_e32 v[92:93], s[2:3], v[48:49]
	v_add_f64 v[34:35], v[80:81], v[82:83]
	v_fmac_f64_e32 v[94:95], 0.5, v[38:39]
	v_add3_u32 v28, v28, v29, v106
	v_add_f64 v[36:37], v[78:79], v[90:91]
	v_add_f64 v[40:41], v[4:5], v[92:93]
	;; [unrolled: 1-line block ×4, first 2 shown]
	v_add_f64 v[48:49], v[78:79], -v[90:91]
	v_add_f64 v[4:5], v[4:5], -v[92:93]
	;; [unrolled: 1-line block ×5, first 2 shown]
	ds_write_b128 v28, v[32:35]
	ds_write_b128 v28, v[36:39] offset:160
	ds_write_b128 v28, v[40:43] offset:320
	ds_write_b128 v28, v[44:47] offset:480
	ds_write_b128 v28, v[48:51] offset:640
	ds_write_b128 v28, v[4:7] offset:800
	s_and_saveexec_b64 s[8:9], vcc
	s_cbranch_execz .LBB0_23
; %bb.22:
	v_add_u32_e32 v4, 0xf0, v86
	s_mov_b32 s10, 0xcccd
	v_mul_u32_u24_sdwa v5, v4, s10 dst_sel:DWORD dst_unused:UNUSED_PAD src0_sel:WORD_0 src1_sel:DWORD
	v_lshrrev_b32_e32 v44, 19, v5
	v_mul_lo_u16_e32 v5, 10, v44
	v_sub_u16_e32 v45, v4, v5
	v_mul_u32_u24_e32 v4, 5, v45
	v_lshlrev_b32_e32 v46, 4, v4
	global_load_dwordx4 v[4:7], v46, s[4:5] offset:16
	global_load_dwordx4 v[28:31], v46, s[4:5] offset:48
	global_load_dwordx4 v[32:35], v46, s[4:5]
	global_load_dwordx4 v[36:39], v46, s[4:5] offset:32
	global_load_dwordx4 v[40:43], v46, s[4:5] offset:64
	v_mul_lo_u16_e32 v44, 60, v44
	v_lshlrev_b32_e32 v44, 4, v44
	v_lshl_add_u32 v45, v45, 4, 0
	v_add3_u32 v54, v45, v44, v106
	s_waitcnt vmcnt(4)
	v_mul_f64 v[44:45], v[14:15], v[6:7]
	v_mul_f64 v[6:7], v[12:13], v[6:7]
	s_waitcnt vmcnt(2)
	v_mul_f64 v[48:49], v[10:11], v[34:35]
	s_waitcnt vmcnt(1)
	v_mul_f64 v[50:51], v[18:19], v[38:39]
	s_waitcnt vmcnt(0)
	v_mul_f64 v[52:53], v[26:27], v[42:43]
	v_mul_f64 v[38:39], v[16:17], v[38:39]
	v_mul_f64 v[42:43], v[24:25], v[42:43]
	v_mul_f64 v[46:47], v[22:23], v[30:31]
	v_mul_f64 v[34:35], v[8:9], v[34:35]
	v_fma_f64 v[12:13], v[12:13], v[4:5], -v[44:45]
	v_fmac_f64_e32 v[6:7], v[14:15], v[4:5]
	v_fma_f64 v[4:5], v[8:9], v[32:33], -v[48:49]
	v_fma_f64 v[8:9], v[16:17], v[36:37], -v[50:51]
	;; [unrolled: 1-line block ×3, first 2 shown]
	v_fmac_f64_e32 v[38:39], v[18:19], v[36:37]
	v_fmac_f64_e32 v[42:43], v[26:27], v[40:41]
	v_mul_f64 v[30:31], v[20:21], v[30:31]
	v_fma_f64 v[20:21], v[20:21], v[28:29], -v[46:47]
	v_fmac_f64_e32 v[34:35], v[10:11], v[32:33]
	v_add_f64 v[18:19], v[8:9], v[14:15]
	v_add_f64 v[26:27], v[38:39], v[42:43]
	v_fmac_f64_e32 v[30:31], v[22:23], v[28:29]
	v_add_f64 v[10:11], v[12:13], -v[20:21]
	v_add_f64 v[22:23], v[38:39], -v[42:43]
	;; [unrolled: 1-line block ×3, first 2 shown]
	v_add_f64 v[28:29], v[2:3], v[6:7]
	v_add_f64 v[32:33], v[34:35], v[38:39]
	;; [unrolled: 1-line block ×5, first 2 shown]
	v_fma_f64 v[18:19], -0.5, v[18:19], v[4:5]
	v_fma_f64 v[26:27], -0.5, v[26:27], v[34:35]
	v_add_f64 v[16:17], v[6:7], v[30:31]
	v_add_f64 v[6:7], v[6:7], -v[30:31]
	v_add_f64 v[4:5], v[28:29], v[30:31]
	v_add_f64 v[28:29], v[32:33], v[42:43]
	v_fma_f64 v[30:31], -0.5, v[36:37], v[0:1]
	v_add_f64 v[12:13], v[12:13], v[20:21]
	v_add_f64 v[8:9], v[8:9], v[14:15]
	v_fma_f64 v[20:21], s[6:7], v[22:23], v[18:19]
	v_fma_f64 v[32:33], s[2:3], v[24:25], v[26:27]
	v_fmac_f64_e32 v[26:27], s[6:7], v[24:25]
	v_fmac_f64_e32 v[18:19], s[2:3], v[22:23]
	v_fma_f64 v[16:17], -0.5, v[16:17], v[2:3]
	v_add_f64 v[2:3], v[4:5], -v[28:29]
	v_fma_f64 v[22:23], s[6:7], v[6:7], v[30:31]
	v_fmac_f64_e32 v[30:31], s[2:3], v[6:7]
	v_add_f64 v[0:1], v[12:13], -v[8:9]
	v_add_f64 v[6:7], v[4:5], v[28:29]
	v_add_f64 v[4:5], v[12:13], v[8:9]
	v_mul_f64 v[8:9], v[32:33], -0.5
	v_mul_f64 v[12:13], v[18:19], s[6:7]
	v_mul_f64 v[28:29], v[26:27], s[2:3]
	v_fma_f64 v[14:15], s[2:3], v[10:11], v[16:17]
	v_fmac_f64_e32 v[16:17], s[6:7], v[10:11]
	v_mul_f64 v[24:25], v[20:21], -0.5
	v_fmac_f64_e32 v[8:9], s[6:7], v[20:21]
	v_fmac_f64_e32 v[12:13], 0.5, v[26:27]
	v_fmac_f64_e32 v[28:29], 0.5, v[18:19]
	ds_write_b128 v54, v[4:7]
	ds_write_b128 v54, v[0:3] offset:480
	v_fmac_f64_e32 v[24:25], s[2:3], v[32:33]
	v_add_f64 v[2:3], v[14:15], -v[8:9]
	v_add_f64 v[6:7], v[16:17], -v[12:13]
	v_add_f64 v[10:11], v[14:15], v[8:9]
	v_add_f64 v[14:15], v[16:17], v[12:13]
	;; [unrolled: 1-line block ×3, first 2 shown]
	v_add_f64 v[0:1], v[22:23], -v[24:25]
	v_add_f64 v[4:5], v[30:31], -v[28:29]
	v_add_f64 v[8:9], v[22:23], v[24:25]
	ds_write_b128 v54, v[12:15] offset:160
	ds_write_b128 v54, v[8:11] offset:320
	;; [unrolled: 1-line block ×4, first 2 shown]
.LBB0_23:
	s_or_b64 exec, exec, s[8:9]
	v_subrev_u32_e32 v0, 60, v86
	v_cmp_gt_u32_e32 vcc, 60, v86
	v_mov_b32_e32 v1, 0
	s_waitcnt lgkmcnt(0)
	v_cndmask_b32_e32 v2, v0, v86, vcc
	v_mul_i32_i24_e32 v0, 15, v2
	v_lshl_add_u64 v[64:65], v[0:1], 4, s[4:5]
	s_barrier
	global_load_dwordx4 v[4:7], v[64:65], off offset:800
	global_load_dwordx4 v[8:11], v[64:65], off offset:816
	;; [unrolled: 1-line block ×15, first 2 shown]
	ds_read_b128 v[64:67], v105
	ds_read_b128 v[68:71], v107 offset:1920
	ds_read_b128 v[72:75], v107 offset:3840
	;; [unrolled: 1-line block ×11, first 2 shown]
	s_mov_b32 s2, 0x667f3bcd
	s_mov_b32 s3, 0xbfe6a09e
	;; [unrolled: 1-line block ×12, first 2 shown]
	v_mov_b32_e32 v0, 0x3c0
	v_cmp_lt_u32_e32 vcc, 59, v86
	s_waitcnt vmcnt(14) lgkmcnt(10)
	v_mul_f64 v[124:125], v[68:69], v[6:7]
	v_mul_f64 v[102:103], v[70:71], v[6:7]
	s_waitcnt vmcnt(13) lgkmcnt(9)
	v_mul_f64 v[6:7], v[74:75], v[10:11]
	v_fmac_f64_e32 v[124:125], v[70:71], v[4:5]
	v_mul_f64 v[70:71], v[72:73], v[10:11]
	v_fma_f64 v[68:69], v[68:69], v[4:5], -v[102:103]
	v_fma_f64 v[72:73], v[72:73], v[8:9], -v[6:7]
	v_fmac_f64_e32 v[70:71], v[74:75], v[8:9]
	ds_read_b128 v[4:7], v107 offset:23040
	ds_read_b128 v[8:11], v107 offset:24960
	s_waitcnt vmcnt(12) lgkmcnt(10)
	v_mul_f64 v[74:75], v[78:79], v[14:15]
	v_mul_f64 v[102:103], v[76:77], v[14:15]
	s_waitcnt vmcnt(11) lgkmcnt(9)
	v_mul_f64 v[14:15], v[82:83], v[18:19]
	v_fma_f64 v[74:75], v[76:77], v[12:13], -v[74:75]
	v_fmac_f64_e32 v[102:103], v[78:79], v[12:13]
	v_mul_f64 v[76:77], v[80:81], v[18:19]
	v_fma_f64 v[78:79], v[80:81], v[16:17], -v[14:15]
	s_waitcnt vmcnt(10) lgkmcnt(8)
	v_mul_f64 v[80:81], v[92:93], v[22:23]
	v_mul_f64 v[22:23], v[90:91], v[22:23]
	v_fmac_f64_e32 v[76:77], v[82:83], v[16:17]
	s_waitcnt vmcnt(9) lgkmcnt(7)
	v_mul_f64 v[82:83], v[96:97], v[26:27]
	v_fma_f64 v[80:81], v[90:91], v[20:21], -v[80:81]
	v_fmac_f64_e32 v[22:23], v[92:93], v[20:21]
	v_mul_f64 v[20:21], v[94:95], v[26:27]
	s_waitcnt vmcnt(8) lgkmcnt(6)
	v_mul_f64 v[26:27], v[100:101], v[30:31]
	v_mul_f64 v[30:31], v[98:99], v[30:31]
	ds_read_b128 v[12:15], v107 offset:26880
	ds_read_b128 v[16:19], v107 offset:28800
	s_waitcnt vmcnt(7) lgkmcnt(7)
	v_mul_f64 v[90:91], v[110:111], v[34:35]
	v_fma_f64 v[82:83], v[94:95], v[24:25], -v[82:83]
	v_fmac_f64_e32 v[20:21], v[96:97], v[24:25]
	v_mul_f64 v[24:25], v[108:109], v[34:35]
	s_waitcnt vmcnt(6) lgkmcnt(6)
	v_mul_f64 v[34:35], v[114:115], v[38:39]
	s_waitcnt vmcnt(5) lgkmcnt(5)
	v_mul_f64 v[92:93], v[118:119], v[42:43]
	v_fma_f64 v[26:27], v[98:99], v[28:29], -v[26:27]
	v_fmac_f64_e32 v[30:31], v[100:101], v[28:29]
	v_mul_f64 v[28:29], v[116:117], v[42:43]
	s_waitcnt vmcnt(3) lgkmcnt(3)
	v_mul_f64 v[94:95], v[6:7], v[50:51]
	v_fma_f64 v[90:91], v[108:109], v[32:33], -v[90:91]
	v_fmac_f64_e32 v[24:25], v[110:111], v[32:33]
	v_fma_f64 v[32:33], v[112:113], v[36:37], -v[34:35]
	v_fma_f64 v[34:35], v[116:117], v[40:41], -v[92:93]
	v_fmac_f64_e32 v[28:29], v[118:119], v[40:41]
	v_fma_f64 v[40:41], v[4:5], v[48:49], -v[94:95]
	v_mul_f64 v[4:5], v[4:5], v[50:51]
	v_fmac_f64_e32 v[4:5], v[6:7], v[48:49]
	s_waitcnt vmcnt(2) lgkmcnt(2)
	v_mul_f64 v[6:7], v[10:11], v[54:55]
	v_fma_f64 v[6:7], v[8:9], v[52:53], -v[6:7]
	v_mul_f64 v[8:9], v[8:9], v[54:55]
	v_fmac_f64_e32 v[8:9], v[10:11], v[52:53]
	s_waitcnt vmcnt(1) lgkmcnt(1)
	v_mul_f64 v[10:11], v[14:15], v[58:59]
	;; [unrolled: 5-line block ×3, first 2 shown]
	v_mul_f64 v[38:39], v[112:113], v[38:39]
	v_mul_f64 v[42:43], v[122:123], v[46:47]
	;; [unrolled: 1-line block ×3, first 2 shown]
	v_fma_f64 v[14:15], v[16:17], v[60:61], -v[14:15]
	v_mul_f64 v[16:17], v[16:17], v[62:63]
	v_fmac_f64_e32 v[38:39], v[114:115], v[36:37]
	v_fma_f64 v[36:37], v[120:121], v[44:45], -v[42:43]
	v_fmac_f64_e32 v[46:47], v[122:123], v[44:45]
	v_fmac_f64_e32 v[16:17], v[18:19], v[60:61]
	v_add_f64 v[18:19], v[64:65], -v[90:91]
	v_add_f64 v[24:25], v[66:67], -v[24:25]
	;; [unrolled: 1-line block ×15, first 2 shown]
	v_fma_f64 v[42:43], v[64:65], 2.0, -v[18:19]
	v_fma_f64 v[44:45], v[66:67], 2.0, -v[24:25]
	;; [unrolled: 1-line block ×5, first 2 shown]
	v_add_f64 v[12:13], v[20:21], -v[12:13]
	v_fma_f64 v[56:57], v[82:83], 2.0, -v[10:11]
	v_fma_f64 v[58:59], v[68:69], 2.0, -v[32:33]
	;; [unrolled: 1-line block ×9, first 2 shown]
	v_add_f64 v[40:41], v[24:25], v[40:41]
	v_add_f64 v[10:11], v[28:29], v[10:11]
	v_fma_f64 v[54:55], v[70:71], 2.0, -v[28:29]
	v_fma_f64 v[20:21], v[20:21], 2.0, -v[12:13]
	v_add_f64 v[50:51], v[44:45], -v[50:51]
	v_add_f64 v[4:5], v[18:19], -v[4:5]
	v_fma_f64 v[24:25], v[24:25], 2.0, -v[40:41]
	v_add_f64 v[56:57], v[52:53], -v[56:57]
	v_add_f64 v[12:13], v[34:35], -v[12:13]
	v_fma_f64 v[28:29], v[28:29], 2.0, -v[10:11]
	v_add_f64 v[62:63], v[58:59], -v[62:63]
	v_add_f64 v[22:23], v[60:61], -v[22:23]
	v_add_f64 v[26:27], v[64:65], -v[26:27]
	v_add_f64 v[30:31], v[66:67], -v[30:31]
	;; [unrolled: 1-line block ×3, first 2 shown]
	v_fma_f64 v[18:19], v[18:19], 2.0, -v[4:5]
	v_add_f64 v[20:21], v[54:55], -v[20:21]
	v_fma_f64 v[34:35], v[34:35], 2.0, -v[12:13]
	v_fma_f64 v[58:59], v[58:59], 2.0, -v[62:63]
	;; [unrolled: 1-line block ×3, first 2 shown]
	v_add_f64 v[8:9], v[32:33], -v[8:9]
	v_add_f64 v[6:7], v[38:39], v[6:7]
	v_fma_f64 v[64:65], v[64:65], 2.0, -v[26:27]
	v_fma_f64 v[66:67], v[66:67], 2.0, -v[30:31]
	v_add_f64 v[16:17], v[36:37], -v[16:17]
	v_add_f64 v[14:15], v[46:47], v[14:15]
	v_fma_f64 v[70:71], s[2:3], v[28:29], v[24:25]
	v_add_f64 v[74:75], v[50:51], v[56:57]
	v_fma_f64 v[76:77], s[6:7], v[12:13], v[4:5]
	v_fma_f64 v[44:45], v[44:45], 2.0, -v[50:51]
	v_fma_f64 v[52:53], v[52:53], 2.0, -v[56:57]
	;; [unrolled: 1-line block ×6, first 2 shown]
	v_fma_f64 v[68:69], s[2:3], v[34:35], v[18:19]
	v_fmac_f64_e32 v[70:71], s[6:7], v[34:35]
	v_add_f64 v[72:73], v[48:49], -v[20:21]
	v_fma_f64 v[34:35], v[50:51], 2.0, -v[74:75]
	v_fmac_f64_e32 v[76:77], s[2:3], v[10:11]
	v_add_f64 v[50:51], v[58:59], -v[64:65]
	v_add_f64 v[56:57], v[60:61], -v[66:67]
	v_fma_f64 v[42:43], v[42:43], 2.0, -v[48:49]
	v_fmac_f64_e32 v[68:69], s[2:3], v[28:29]
	v_fma_f64 v[28:29], v[48:49], 2.0, -v[72:73]
	v_fma_f64 v[78:79], s[6:7], v[10:11], v[40:41]
	v_fma_f64 v[48:49], v[4:5], 2.0, -v[76:77]
	v_fma_f64 v[4:5], v[58:59], 2.0, -v[50:51]
	;; [unrolled: 1-line block ×3, first 2 shown]
	v_fma_f64 v[58:59], s[2:3], v[36:37], v[32:33]
	v_fma_f64 v[60:61], s[2:3], v[46:47], v[38:39]
	v_fmac_f64_e32 v[58:59], s[2:3], v[46:47]
	v_fmac_f64_e32 v[60:61], s[6:7], v[36:37]
	v_fma_f64 v[54:55], v[54:55], 2.0, -v[20:21]
	v_fma_f64 v[24:25], v[24:25], 2.0, -v[70:71]
	;; [unrolled: 1-line block ×4, first 2 shown]
	v_add_f64 v[64:65], v[62:63], -v[30:31]
	v_fma_f64 v[80:81], s[6:7], v[16:17], v[8:9]
	v_fma_f64 v[82:83], s[6:7], v[14:15], v[6:7]
	v_fma_f64 v[18:19], v[18:19], 2.0, -v[68:69]
	v_fmac_f64_e32 v[78:79], s[6:7], v[12:13]
	v_add_f64 v[66:67], v[22:23], v[26:27]
	v_fma_f64 v[26:27], v[62:63], 2.0, -v[64:65]
	v_fmac_f64_e32 v[80:81], s[2:3], v[14:15]
	v_fmac_f64_e32 v[82:83], s[6:7], v[16:17]
	v_fma_f64 v[14:15], s[10:11], v[32:33], v[24:25]
	v_add_f64 v[54:55], v[44:45], -v[54:55]
	v_fma_f64 v[40:41], v[40:41], 2.0, -v[78:79]
	v_fma_f64 v[30:31], v[22:23], 2.0, -v[66:67]
	;; [unrolled: 1-line block ×3, first 2 shown]
	v_fma_f64 v[12:13], s[10:11], v[20:21], v[18:19]
	v_fmac_f64_e32 v[14:15], s[12:13], v[20:21]
	v_fma_f64 v[20:21], s[2:3], v[26:27], v[28:29]
	v_add_f64 v[52:53], v[42:43], -v[52:53]
	v_fma_f64 v[44:45], v[44:45], 2.0, -v[54:55]
	v_fma_f64 v[36:37], v[8:9], 2.0, -v[80:81]
	v_fmac_f64_e32 v[12:13], s[8:9], v[32:33]
	v_fma_f64 v[22:23], s[2:3], v[30:31], v[34:35]
	v_fmac_f64_e32 v[20:21], s[2:3], v[30:31]
	v_fma_f64 v[30:31], s[8:9], v[38:39], v[40:41]
	v_fma_f64 v[42:43], v[42:43], 2.0, -v[52:53]
	v_add_f64 v[6:7], v[44:45], -v[10:11]
	v_fma_f64 v[16:17], v[18:19], 2.0, -v[12:13]
	v_fma_f64 v[18:19], v[24:25], 2.0, -v[14:15]
	v_fmac_f64_e32 v[22:23], s[6:7], v[26:27]
	v_fma_f64 v[24:25], v[28:29], 2.0, -v[20:21]
	v_fma_f64 v[28:29], s[8:9], v[36:37], v[48:49]
	v_fmac_f64_e32 v[30:31], s[14:15], v[36:37]
	v_add_f64 v[36:37], v[52:53], -v[56:57]
	v_cndmask_b32_e32 v0, 0, v0, vcc
	v_add_f64 v[4:5], v[42:43], -v[4:5]
	v_fma_f64 v[10:11], v[44:45], 2.0, -v[6:7]
	v_fma_f64 v[26:27], v[34:35], 2.0, -v[22:23]
	v_fmac_f64_e32 v[28:29], s[10:11], v[38:39]
	v_fma_f64 v[34:35], v[40:41], 2.0, -v[30:31]
	v_add_f64 v[38:39], v[54:55], v[50:51]
	v_fma_f64 v[40:41], v[52:53], 2.0, -v[36:37]
	v_fma_f64 v[44:45], s[12:13], v[58:59], v[68:69]
	v_fma_f64 v[52:53], s[6:7], v[64:65], v[72:73]
	v_or_b32_e32 v0, v0, v2
	v_fma_f64 v[8:9], v[42:43], 2.0, -v[4:5]
	v_fma_f64 v[42:43], v[54:55], 2.0, -v[38:39]
	v_fma_f64 v[46:47], s[12:13], v[60:61], v[70:71]
	v_fmac_f64_e32 v[44:45], s[10:11], v[60:61]
	v_fma_f64 v[54:55], s[6:7], v[66:67], v[74:75]
	v_fmac_f64_e32 v[52:53], s[2:3], v[66:67]
	v_fma_f64 v[60:61], s[14:15], v[80:81], v[76:77]
	v_fma_f64 v[62:63], s[14:15], v[82:83], v[78:79]
	v_lshlrev_b32_e32 v0, 4, v0
	v_lshl_add_u64 v[2:3], v[88:89], 4, s[4:5]
	s_movk_i32 s2, 0x3000
	v_fmac_f64_e32 v[46:47], s[14:15], v[58:59]
	v_fmac_f64_e32 v[54:55], s[6:7], v[64:65]
	;; [unrolled: 1-line block ×4, first 2 shown]
	v_add3_u32 v0, 0, v0, v106
	v_add_co_u32_e32 v2, vcc, s2, v2
	v_fma_f64 v[32:33], v[48:49], 2.0, -v[28:29]
	v_fma_f64 v[48:49], v[68:69], 2.0, -v[44:45]
	;; [unrolled: 1-line block ×7, first 2 shown]
	s_barrier
	ds_write_b128 v0, v[8:11]
	ds_write_b128 v0, v[16:19] offset:960
	ds_write_b128 v0, v[24:27] offset:1920
	ds_write_b128 v0, v[32:35] offset:2880
	ds_write_b128 v0, v[40:43] offset:3840
	ds_write_b128 v0, v[48:51] offset:4800
	ds_write_b128 v0, v[56:59] offset:5760
	ds_write_b128 v0, v[64:67] offset:6720
	ds_write_b128 v0, v[4:7] offset:7680
	ds_write_b128 v0, v[12:15] offset:8640
	ds_write_b128 v0, v[20:23] offset:9600
	ds_write_b128 v0, v[28:31] offset:10560
	ds_write_b128 v0, v[36:39] offset:11520
	ds_write_b128 v0, v[44:47] offset:12480
	ds_write_b128 v0, v[52:55] offset:13440
	ds_write_b128 v0, v[60:63] offset:14400
	v_addc_co_u32_e32 v3, vcc, 0, v3, vcc
	v_lshl_add_u64 v[22:23], v[86:87], 4, s[4:5]
	s_movk_i32 s2, 0x4000
	s_waitcnt lgkmcnt(0)
	s_barrier
	global_load_dwordx4 v[2:5], v[2:3], off offset:2912
	v_add_co_u32_e32 v14, vcc, s2, v22
	s_movk_i32 s2, 0x5000
	s_nop 0
	v_addc_co_u32_e32 v15, vcc, 0, v23, vcc
	global_load_dwordx4 v[6:9], v[14:15], off offset:736
	global_load_dwordx4 v[10:13], v[14:15], off offset:2656
	v_add_co_u32_e32 v24, vcc, s2, v22
	s_movk_i32 s2, 0x6000
	s_nop 0
	v_addc_co_u32_e32 v25, vcc, 0, v23, vcc
	global_load_dwordx4 v[14:17], v[24:25], off offset:480
	global_load_dwordx4 v[18:21], v[24:25], off offset:2400
	v_add_co_u32_e32 v34, vcc, s2, v22
	s_nop 1
	v_addc_co_u32_e32 v35, vcc, 0, v23, vcc
	global_load_dwordx4 v[22:25], v[34:35], off offset:224
	global_load_dwordx4 v[26:29], v[34:35], off offset:2144
	;; [unrolled: 1-line block ×3, first 2 shown]
	ds_read_b128 v[34:37], v105
	ds_read_b128 v[38:41], v107 offset:1920
	ds_read_b128 v[42:45], v107 offset:15360
	;; [unrolled: 1-line block ×15, first 2 shown]
	s_waitcnt lgkmcnt(0)
	s_barrier
	s_waitcnt vmcnt(7)
	v_mul_f64 v[82:83], v[44:45], v[4:5]
	v_mul_f64 v[4:5], v[42:43], v[4:5]
	v_fma_f64 v[82:83], v[42:43], v[2:3], -v[82:83]
	v_fmac_f64_e32 v[4:5], v[44:45], v[2:3]
	v_add_f64 v[4:5], v[36:37], -v[4:5]
	s_waitcnt vmcnt(6)
	v_mul_f64 v[2:3], v[48:49], v[8:9]
	v_mul_f64 v[44:45], v[46:47], v[8:9]
	v_fma_f64 v[42:43], v[46:47], v[6:7], -v[2:3]
	v_fmac_f64_e32 v[44:45], v[48:49], v[6:7]
	s_waitcnt vmcnt(5)
	v_mul_f64 v[2:3], v[60:61], v[12:13]
	v_mul_f64 v[48:49], v[58:59], v[12:13]
	v_fma_f64 v[46:47], v[58:59], v[10:11], -v[2:3]
	v_fmac_f64_e32 v[48:49], v[60:61], v[10:11]
	;; [unrolled: 5-line block ×7, first 2 shown]
	v_add_f64 v[2:3], v[34:35], -v[82:83]
	v_add_f64 v[18:19], v[50:51], -v[46:47]
	;; [unrolled: 1-line block ×3, first 2 shown]
	v_fma_f64 v[6:7], v[34:35], 2.0, -v[2:3]
	v_fma_f64 v[8:9], v[36:37], 2.0, -v[4:5]
	v_add_f64 v[10:11], v[38:39], -v[42:43]
	v_add_f64 v[12:13], v[40:41], -v[44:45]
	v_fma_f64 v[22:23], v[50:51], 2.0, -v[18:19]
	v_fma_f64 v[24:25], v[52:53], 2.0, -v[20:21]
	v_add_f64 v[26:27], v[54:55], -v[58:59]
	v_add_f64 v[28:29], v[56:57], -v[60:61]
	;; [unrolled: 1-line block ×10, first 2 shown]
	v_fma_f64 v[14:15], v[38:39], 2.0, -v[10:11]
	v_fma_f64 v[16:17], v[40:41], 2.0, -v[12:13]
	;; [unrolled: 1-line block ×12, first 2 shown]
	ds_write_b128 v107, v[6:9]
	ds_write_b128 v107, v[2:5] offset:15360
	ds_write_b128 v107, v[14:17] offset:1920
	;; [unrolled: 1-line block ×15, first 2 shown]
	s_waitcnt lgkmcnt(0)
	s_barrier
	s_and_saveexec_b64 s[2:3], s[0:1]
	s_cbranch_execz .LBB0_25
; %bb.24:
	v_lshl_add_u32 v12, v86, 4, v104
	ds_read_b128 v[2:5], v12
	ds_read_b128 v[6:9], v12 offset:1920
	v_mov_b32_e32 v87, v1
	v_add_u32_e32 v0, 0x78, v86
	v_lshl_add_u64 v[10:11], v[86:87], 4, v[84:85]
	s_waitcnt lgkmcnt(1)
	global_store_dwordx4 v[10:11], v[2:5], off
	v_lshl_add_u64 v[10:11], v[0:1], 4, v[84:85]
	ds_read_b128 v[2:5], v12 offset:3840
	s_waitcnt lgkmcnt(1)
	global_store_dwordx4 v[10:11], v[6:9], off
	ds_read_b128 v[6:9], v12 offset:5760
	v_add_u32_e32 v0, 0xf0, v86
	v_lshl_add_u64 v[10:11], v[0:1], 4, v[84:85]
	v_add_u32_e32 v0, 0x168, v86
	s_waitcnt lgkmcnt(1)
	global_store_dwordx4 v[10:11], v[2:5], off
	v_lshl_add_u64 v[10:11], v[0:1], 4, v[84:85]
	ds_read_b128 v[2:5], v12 offset:7680
	s_waitcnt lgkmcnt(1)
	global_store_dwordx4 v[10:11], v[6:9], off
	ds_read_b128 v[6:9], v12 offset:9600
	v_add_u32_e32 v0, 0x1e0, v86
	v_lshl_add_u64 v[10:11], v[0:1], 4, v[84:85]
	v_add_u32_e32 v0, 0x258, v86
	;; [unrolled: 10-line block ×7, first 2 shown]
	v_lshl_add_u64 v[0:1], v[0:1], 4, v[84:85]
	s_waitcnt lgkmcnt(1)
	global_store_dwordx4 v[10:11], v[2:5], off
	s_waitcnt lgkmcnt(0)
	global_store_dwordx4 v[0:1], v[6:9], off
.LBB0_25:
	s_endpgm
	.section	.rodata,"a",@progbits
	.p2align	6, 0x0
	.amdhsa_kernel fft_rtc_fwd_len1920_factors_10_6_16_2_wgs_240_tpt_120_halfLds_dp_ip_CI_unitstride_sbrr_C2R_dirReg
		.amdhsa_group_segment_fixed_size 0
		.amdhsa_private_segment_fixed_size 0
		.amdhsa_kernarg_size 88
		.amdhsa_user_sgpr_count 2
		.amdhsa_user_sgpr_dispatch_ptr 0
		.amdhsa_user_sgpr_queue_ptr 0
		.amdhsa_user_sgpr_kernarg_segment_ptr 1
		.amdhsa_user_sgpr_dispatch_id 0
		.amdhsa_user_sgpr_kernarg_preload_length 0
		.amdhsa_user_sgpr_kernarg_preload_offset 0
		.amdhsa_user_sgpr_private_segment_size 0
		.amdhsa_uses_dynamic_stack 0
		.amdhsa_enable_private_segment 0
		.amdhsa_system_sgpr_workgroup_id_x 1
		.amdhsa_system_sgpr_workgroup_id_y 0
		.amdhsa_system_sgpr_workgroup_id_z 0
		.amdhsa_system_sgpr_workgroup_info 0
		.amdhsa_system_vgpr_workitem_id 0
		.amdhsa_next_free_vgpr 126
		.amdhsa_next_free_sgpr 22
		.amdhsa_accum_offset 128
		.amdhsa_reserve_vcc 1
		.amdhsa_float_round_mode_32 0
		.amdhsa_float_round_mode_16_64 0
		.amdhsa_float_denorm_mode_32 3
		.amdhsa_float_denorm_mode_16_64 3
		.amdhsa_dx10_clamp 1
		.amdhsa_ieee_mode 1
		.amdhsa_fp16_overflow 0
		.amdhsa_tg_split 0
		.amdhsa_exception_fp_ieee_invalid_op 0
		.amdhsa_exception_fp_denorm_src 0
		.amdhsa_exception_fp_ieee_div_zero 0
		.amdhsa_exception_fp_ieee_overflow 0
		.amdhsa_exception_fp_ieee_underflow 0
		.amdhsa_exception_fp_ieee_inexact 0
		.amdhsa_exception_int_div_zero 0
	.end_amdhsa_kernel
	.text
.Lfunc_end0:
	.size	fft_rtc_fwd_len1920_factors_10_6_16_2_wgs_240_tpt_120_halfLds_dp_ip_CI_unitstride_sbrr_C2R_dirReg, .Lfunc_end0-fft_rtc_fwd_len1920_factors_10_6_16_2_wgs_240_tpt_120_halfLds_dp_ip_CI_unitstride_sbrr_C2R_dirReg
                                        ; -- End function
	.section	.AMDGPU.csdata,"",@progbits
; Kernel info:
; codeLenInByte = 11316
; NumSgprs: 28
; NumVgprs: 126
; NumAgprs: 0
; TotalNumVgprs: 126
; ScratchSize: 0
; MemoryBound: 0
; FloatMode: 240
; IeeeMode: 1
; LDSByteSize: 0 bytes/workgroup (compile time only)
; SGPRBlocks: 3
; VGPRBlocks: 15
; NumSGPRsForWavesPerEU: 28
; NumVGPRsForWavesPerEU: 126
; AccumOffset: 128
; Occupancy: 4
; WaveLimiterHint : 1
; COMPUTE_PGM_RSRC2:SCRATCH_EN: 0
; COMPUTE_PGM_RSRC2:USER_SGPR: 2
; COMPUTE_PGM_RSRC2:TRAP_HANDLER: 0
; COMPUTE_PGM_RSRC2:TGID_X_EN: 1
; COMPUTE_PGM_RSRC2:TGID_Y_EN: 0
; COMPUTE_PGM_RSRC2:TGID_Z_EN: 0
; COMPUTE_PGM_RSRC2:TIDIG_COMP_CNT: 0
; COMPUTE_PGM_RSRC3_GFX90A:ACCUM_OFFSET: 31
; COMPUTE_PGM_RSRC3_GFX90A:TG_SPLIT: 0
	.text
	.p2alignl 6, 3212836864
	.fill 256, 4, 3212836864
	.type	__hip_cuid_1dd00104e651d4b7,@object ; @__hip_cuid_1dd00104e651d4b7
	.section	.bss,"aw",@nobits
	.globl	__hip_cuid_1dd00104e651d4b7
__hip_cuid_1dd00104e651d4b7:
	.byte	0                               ; 0x0
	.size	__hip_cuid_1dd00104e651d4b7, 1

	.ident	"AMD clang version 19.0.0git (https://github.com/RadeonOpenCompute/llvm-project roc-6.4.0 25133 c7fe45cf4b819c5991fe208aaa96edf142730f1d)"
	.section	".note.GNU-stack","",@progbits
	.addrsig
	.addrsig_sym __hip_cuid_1dd00104e651d4b7
	.amdgpu_metadata
---
amdhsa.kernels:
  - .agpr_count:     0
    .args:
      - .actual_access:  read_only
        .address_space:  global
        .offset:         0
        .size:           8
        .value_kind:     global_buffer
      - .offset:         8
        .size:           8
        .value_kind:     by_value
      - .actual_access:  read_only
        .address_space:  global
        .offset:         16
        .size:           8
        .value_kind:     global_buffer
      - .actual_access:  read_only
        .address_space:  global
        .offset:         24
        .size:           8
        .value_kind:     global_buffer
      - .offset:         32
        .size:           8
        .value_kind:     by_value
      - .actual_access:  read_only
        .address_space:  global
        .offset:         40
        .size:           8
        .value_kind:     global_buffer
      - .actual_access:  read_only
        .address_space:  global
        .offset:         48
        .size:           8
        .value_kind:     global_buffer
      - .offset:         56
        .size:           4
        .value_kind:     by_value
      - .actual_access:  read_only
        .address_space:  global
        .offset:         64
        .size:           8
        .value_kind:     global_buffer
      - .actual_access:  read_only
        .address_space:  global
        .offset:         72
        .size:           8
        .value_kind:     global_buffer
      - .address_space:  global
        .offset:         80
        .size:           8
        .value_kind:     global_buffer
    .group_segment_fixed_size: 0
    .kernarg_segment_align: 8
    .kernarg_segment_size: 88
    .language:       OpenCL C
    .language_version:
      - 2
      - 0
    .max_flat_workgroup_size: 240
    .name:           fft_rtc_fwd_len1920_factors_10_6_16_2_wgs_240_tpt_120_halfLds_dp_ip_CI_unitstride_sbrr_C2R_dirReg
    .private_segment_fixed_size: 0
    .sgpr_count:     28
    .sgpr_spill_count: 0
    .symbol:         fft_rtc_fwd_len1920_factors_10_6_16_2_wgs_240_tpt_120_halfLds_dp_ip_CI_unitstride_sbrr_C2R_dirReg.kd
    .uniform_work_group_size: 1
    .uses_dynamic_stack: false
    .vgpr_count:     126
    .vgpr_spill_count: 0
    .wavefront_size: 64
amdhsa.target:   amdgcn-amd-amdhsa--gfx950
amdhsa.version:
  - 1
  - 2
...

	.end_amdgpu_metadata
